;; amdgpu-corpus repo=zjin-lcf/HeCBench kind=compiled arch=gfx942 opt=O3
	.text
	.amdgcn_target "amdgcn-amd-amdhsa--gfx942"
	.amdhsa_code_object_version 6
	.protected	_Z22FP8TrtAddQKVBiasKernel21FP8TrtAddQKVBiasParamI19__hip_fp8_e4m3_fnuz14__hip_bfloat16E ; -- Begin function _Z22FP8TrtAddQKVBiasKernel21FP8TrtAddQKVBiasParamI19__hip_fp8_e4m3_fnuz14__hip_bfloat16E
	.globl	_Z22FP8TrtAddQKVBiasKernel21FP8TrtAddQKVBiasParamI19__hip_fp8_e4m3_fnuz14__hip_bfloat16E
	.p2align	8
	.type	_Z22FP8TrtAddQKVBiasKernel21FP8TrtAddQKVBiasParamI19__hip_fp8_e4m3_fnuz14__hip_bfloat16E,@function
_Z22FP8TrtAddQKVBiasKernel21FP8TrtAddQKVBiasParamI19__hip_fp8_e4m3_fnuz14__hip_bfloat16E: ; @_Z22FP8TrtAddQKVBiasKernel21FP8TrtAddQKVBiasParamI19__hip_fp8_e4m3_fnuz14__hip_bfloat16E
; %bb.0:
	s_load_dwordx2 s[14:15], s[0:1], 0x30
	s_load_dwordx8 s[4:11], s[0:1], 0x0
	v_bfe_u32 v1, v0, 20, 10
	v_bfe_u32 v4, v0, 10, 10
	v_and_b32_e32 v0, 0x3ff, v0
	s_waitcnt lgkmcnt(0)
	s_mul_i32 s2, s2, s15
	s_mul_i32 s13, s2, 3
	s_add_u32 s2, s6, s13
	s_addc_u32 s3, s7, 0
	s_ashr_i32 s6, s14, 31
	s_lshr_b32 s6, s6, 30
	s_add_i32 s6, s14, s6
	s_ashr_i32 s12, s6, 2
	s_ashr_i32 s6, s15, 31
	s_lshr_b32 s6, s6, 30
	s_add_i32 s6, s15, s6
	s_ashr_i32 s6, s6, 2
	v_mul_lo_u32 v2, s6, v1
	v_mul_lo_u32 v3, s12, v4
	v_add3_u32 v2, v3, v0, v2
	v_ashrrev_i32_e32 v3, 31, v2
	v_lshl_add_u64 v[6:7], v[2:3], 2, s[2:3]
	global_load_dword v6, v[6:7], off
	s_mov_b32 s2, 0x7f800000
                                        ; implicit-def: $vgpr7
	s_waitcnt vmcnt(0)
	v_and_b32_e32 v3, 0xff, v6
	v_cvt_f32_fp8_sdwa v3, v3 src0_sel:BYTE_0
	s_nop 0
	v_and_b32_e32 v5, 0x7f800000, v3
	v_cmp_ne_u32_e32 vcc, s2, v5
	s_and_saveexec_b64 s[2:3], vcc
	s_xor_b64 s[2:3], exec, s[2:3]
; %bb.1:
	v_bfe_u32 v5, v3, 16, 1
	s_movk_i32 s6, 0x7fff
	v_add3_u32 v7, v3, v5, s6
                                        ; implicit-def: $vgpr3
; %bb.2:
	s_andn2_saveexec_b64 s[2:3], s[2:3]
; %bb.3:
	v_mov_b32_e32 v5, 0
	v_or_b32_e32 v7, 0x10000, v3
	v_cmp_eq_u32_sdwa vcc, v3, v5 src0_sel:WORD_0 src1_sel:DWORD
	s_nop 1
	v_cndmask_b32_e32 v7, v7, v3, vcc
; %bb.4:
	s_or_b64 exec, exec, s[2:3]
	v_bfe_u32 v3, v6, 8, 8
	v_cvt_f32_fp8_sdwa v5, v3 src0_sel:BYTE_0
	s_mov_b32 s2, 0x7f800000
	v_and_b32_e32 v3, 0x7f800000, v5
	v_cmp_ne_u32_e32 vcc, s2, v3
                                        ; implicit-def: $vgpr3
	s_and_saveexec_b64 s[2:3], vcc
	s_xor_b64 s[2:3], exec, s[2:3]
; %bb.5:
	v_bfe_u32 v3, v5, 16, 1
	s_movk_i32 s6, 0x7fff
	v_add3_u32 v3, v5, v3, s6
                                        ; implicit-def: $vgpr5
; %bb.6:
	s_andn2_saveexec_b64 s[2:3], s[2:3]
; %bb.7:
	v_mov_b32_e32 v3, 0
	v_or_b32_e32 v8, 0x10000, v5
	v_cmp_eq_u32_sdwa vcc, v5, v3 src0_sel:WORD_0 src1_sel:DWORD
	s_nop 1
	v_cndmask_b32_e32 v3, v8, v5, vcc
; %bb.8:
	s_or_b64 exec, exec, s[2:3]
	v_bfe_u32 v5, v6, 16, 8
	v_cvt_f32_fp8_sdwa v8, v5 src0_sel:BYTE_0
	s_mov_b32 s2, 0x7f800000
	v_and_b32_e32 v5, 0x7f800000, v8
	v_cmp_ne_u32_e32 vcc, s2, v5
                                        ; implicit-def: $vgpr5
	s_and_saveexec_b64 s[2:3], vcc
	s_xor_b64 s[2:3], exec, s[2:3]
; %bb.9:
	v_bfe_u32 v5, v8, 16, 1
	s_movk_i32 s6, 0x7fff
	v_add3_u32 v5, v8, v5, s6
                                        ; implicit-def: $vgpr8
; %bb.10:
	s_or_saveexec_b64 s[2:3], s[2:3]
	s_load_dwordx2 s[0:1], s[0:1], 0x20
	s_xor_b64 exec, exec, s[2:3]
; %bb.11:
	v_mov_b32_e32 v5, 0
	v_or_b32_e32 v9, 0x10000, v8
	v_cmp_eq_u32_sdwa vcc, v8, v5 src0_sel:WORD_0 src1_sel:DWORD
	s_nop 1
	v_cndmask_b32_e32 v5, v9, v8, vcc
; %bb.12:
	s_or_b64 exec, exec, s[2:3]
	v_lshrrev_b32_e32 v6, 24, v6
	v_cvt_f32_fp8_sdwa v8, v6 src0_sel:BYTE_0
	s_mov_b32 s2, 0x7f800000
	v_and_b32_e32 v6, 0x7f800000, v8
	v_cmp_ne_u32_e32 vcc, s2, v6
                                        ; implicit-def: $vgpr6
	s_and_saveexec_b64 s[2:3], vcc
	s_xor_b64 s[2:3], exec, s[2:3]
; %bb.13:
	v_bfe_u32 v6, v8, 16, 1
	s_movk_i32 s6, 0x7fff
	v_add3_u32 v6, v8, v6, s6
                                        ; implicit-def: $vgpr8
; %bb.14:
	s_andn2_saveexec_b64 s[2:3], s[2:3]
; %bb.15:
	v_mov_b32_e32 v6, 0
	v_or_b32_e32 v9, 0x10000, v8
	v_cmp_eq_u32_sdwa vcc, v8, v6 src0_sel:WORD_0 src1_sel:DWORD
	s_nop 1
	v_cndmask_b32_e32 v6, v9, v8, vcc
; %bb.16:
	s_or_b64 exec, exec, s[2:3]
	s_load_dword s14, s[10:11], 0x0
	s_waitcnt lgkmcnt(0)
	s_and_b32 s6, s14, 0x7f800000
	s_cmp_lg_u32 s6, 0x7f800000
	s_cselect_b64 s[2:3], -1, 0
	s_cmp_eq_u32 s6, 0x7f800000
	s_cbranch_scc1 .LBB0_18
; %bb.17:
	s_bfe_u32 s6, s14, 0x10010
	s_add_i32 s6, s14, s6
	s_add_i32 s11, s6, 0x7fff
	s_cbranch_execz .LBB0_19
	s_branch .LBB0_20
.LBB0_18:
                                        ; implicit-def: $sgpr11
.LBB0_19:
	s_and_b32 s6, s14, 0xffff
	s_or_b32 s7, s14, 0x10000
	s_cmp_eq_u32 s6, 0
	s_cselect_b32 s11, s14, s7
.LBB0_20:
	s_andn2_b64 vcc, exec, s[2:3]
	s_cbranch_vccnz .LBB0_22
; %bb.21:
	s_bfe_u32 s2, s14, 0x10010
	s_add_i32 s2, s14, s2
	s_add_i32 s10, s2, 0x7fff
	s_cbranch_execz .LBB0_23
	s_branch .LBB0_24
.LBB0_22:
                                        ; implicit-def: $sgpr10
.LBB0_23:
	s_and_b32 s2, s14, 0xffff
	s_or_b32 s3, s14, 0x10000
	s_cmp_eq_u32 s2, 0
	s_cselect_b32 s10, s14, s3
.LBB0_24:
	s_load_dword s14, s[0:1], 0x0
	s_waitcnt lgkmcnt(0)
	s_and_b32 s2, s14, 0x7f800000
	s_cmp_lg_u32 s2, 0x7f800000
	s_cselect_b64 s[0:1], -1, 0
	s_cmp_eq_u32 s2, 0x7f800000
	s_cbranch_scc1 .LBB0_26
; %bb.25:
	s_bfe_u32 s2, s14, 0x10010
	s_add_i32 s2, s14, s2
	s_add_i32 s6, s2, 0x7fff
	s_cbranch_execz .LBB0_27
	s_branch .LBB0_28
.LBB0_26:
                                        ; implicit-def: $sgpr6
.LBB0_27:
	s_and_b32 s2, s14, 0xffff
	s_or_b32 s3, s14, 0x10000
	s_cmp_eq_u32 s2, 0
	s_cselect_b32 s6, s14, s3
.LBB0_28:
	s_andn2_b64 vcc, exec, s[0:1]
	s_cbranch_vccnz .LBB0_30
; %bb.29:
	s_bfe_u32 s0, s14, 0x10010
	s_add_i32 s0, s14, s0
	s_add_i32 s7, s0, 0x7fff
	s_cbranch_execz .LBB0_31
	s_branch .LBB0_32
.LBB0_30:
                                        ; implicit-def: $sgpr7
.LBB0_31:
	s_and_b32 s0, s14, 0xffff
	s_or_b32 s1, s14, 0x10000
	s_cmp_eq_u32 s0, 0
	s_cselect_b32 s7, s14, s1
.LBB0_32:
	s_and_b32 s2, s11, 0xffff0000
	v_and_b32_e32 v7, 0xffff0000, v7
	v_mul_f32_e32 v8, s2, v7
	s_mov_b32 s0, 0x7f800000
	v_and_b32_e32 v7, 0x7f800000, v8
	v_cmp_ne_u32_e32 vcc, s0, v7
                                        ; implicit-def: $vgpr7
	s_and_saveexec_b64 s[0:1], vcc
	s_xor_b64 s[0:1], exec, s[0:1]
; %bb.33:
	v_bfe_u32 v7, v8, 16, 1
	s_movk_i32 s3, 0x7fff
	v_add3_u32 v7, v8, v7, s3
                                        ; implicit-def: $vgpr8
; %bb.34:
	s_andn2_saveexec_b64 s[0:1], s[0:1]
; %bb.35:
	v_mov_b32_e32 v7, 0
	v_or_b32_e32 v9, 0x10000, v8
	v_cmp_eq_u32_sdwa vcc, v8, v7 src0_sel:WORD_0 src1_sel:DWORD
	s_nop 1
	v_cndmask_b32_e32 v7, v9, v8, vcc
; %bb.36:
	s_or_b64 exec, exec, s[0:1]
	s_and_b32 s3, s10, 0xffff0000
	v_and_b32_e32 v3, 0xffff0000, v3
	v_mul_f32_e32 v3, s3, v3
	s_mov_b32 s0, 0x7f800000
	v_and_b32_e32 v8, 0x7f800000, v3
	v_cmp_ne_u32_e32 vcc, s0, v8
                                        ; implicit-def: $vgpr8
	s_and_saveexec_b64 s[0:1], vcc
	s_xor_b64 s[0:1], exec, s[0:1]
; %bb.37:
	v_bfe_u32 v8, v3, 16, 1
	s_movk_i32 s10, 0x7fff
	v_add3_u32 v8, v3, v8, s10
                                        ; implicit-def: $vgpr3
; %bb.38:
	s_andn2_saveexec_b64 s[0:1], s[0:1]
; %bb.39:
	v_mov_b32_e32 v8, 0
	v_or_b32_e32 v9, 0x10000, v3
	v_cmp_eq_u32_sdwa vcc, v3, v8 src0_sel:WORD_0 src1_sel:DWORD
	s_nop 1
	v_cndmask_b32_e32 v8, v9, v3, vcc
; %bb.40:
	s_or_b64 exec, exec, s[0:1]
	v_lshlrev_b32_e32 v2, 1, v2
	v_mov_b32_e32 v10, s8
	v_mov_b32_e32 v11, s9
	v_ashrrev_i32_e32 v3, 31, v2
	v_lshl_add_u64 v[2:3], v[2:3], 2, v[10:11]
	global_load_dword v9, v[2:3], off
	v_and_b32_e32 v7, 0xffff0000, v7
	s_mov_b32 s0, 0x7f800000
	s_waitcnt vmcnt(0)
	v_lshlrev_b32_e32 v10, 16, v9
	v_add_f32_e32 v10, v7, v10
	v_and_b32_e32 v7, 0x7f800000, v10
	v_cmp_ne_u32_e32 vcc, s0, v7
                                        ; implicit-def: $vgpr7
	s_and_saveexec_b64 s[0:1], vcc
	s_xor_b64 s[0:1], exec, s[0:1]
; %bb.41:
	v_bfe_u32 v7, v10, 16, 1
	s_movk_i32 s8, 0x7fff
	v_add3_u32 v7, v10, v7, s8
                                        ; implicit-def: $vgpr10
; %bb.42:
	s_andn2_saveexec_b64 s[0:1], s[0:1]
; %bb.43:
	v_mov_b32_e32 v7, 0
	v_or_b32_e32 v11, 0x10000, v10
	v_cmp_eq_u32_sdwa vcc, v10, v7 src0_sel:WORD_0 src1_sel:DWORD
	s_nop 1
	v_cndmask_b32_e32 v7, v11, v10, vcc
; %bb.44:
	s_or_b64 exec, exec, s[0:1]
	v_and_b32_e32 v8, 0xffff0000, v8
	v_and_b32_e32 v9, 0xffff0000, v9
	v_add_f32_e32 v9, v8, v9
	s_mov_b32 s0, 0x7f800000
	v_and_b32_e32 v8, 0x7f800000, v9
	v_cmp_ne_u32_e32 vcc, s0, v8
                                        ; implicit-def: $vgpr8
	s_and_saveexec_b64 s[0:1], vcc
	s_xor_b64 s[0:1], exec, s[0:1]
; %bb.45:
	v_bfe_u32 v8, v9, 16, 1
	s_movk_i32 s8, 0x7fff
	v_add3_u32 v8, v9, v8, s8
                                        ; implicit-def: $vgpr9
; %bb.46:
	s_andn2_saveexec_b64 s[0:1], s[0:1]
; %bb.47:
	v_mov_b32_e32 v8, 0
	v_or_b32_e32 v10, 0x10000, v9
	v_cmp_eq_u32_sdwa vcc, v9, v8 src0_sel:WORD_0 src1_sel:DWORD
	s_nop 1
	v_cndmask_b32_e32 v8, v10, v9, vcc
; %bb.48:
	s_or_b64 exec, exec, s[0:1]
	s_and_b32 s6, s6, 0xffff0000
	v_and_b32_e32 v7, 0xffff0000, v7
	v_mul_f32_e32 v9, s6, v7
	s_mov_b32 s0, 0x7f800000
	v_and_b32_e32 v7, 0x7f800000, v9
	v_cmp_ne_u32_e32 vcc, s0, v7
                                        ; implicit-def: $vgpr7
	s_and_saveexec_b64 s[0:1], vcc
	s_xor_b64 s[0:1], exec, s[0:1]
; %bb.49:
	v_bfe_u32 v7, v9, 16, 1
	s_movk_i32 s8, 0x7fff
	v_add3_u32 v7, v9, v7, s8
                                        ; implicit-def: $vgpr9
; %bb.50:
	s_andn2_saveexec_b64 s[0:1], s[0:1]
; %bb.51:
	v_mov_b32_e32 v7, 0
	v_or_b32_e32 v10, 0x10000, v9
	v_cmp_eq_u32_sdwa vcc, v9, v7 src0_sel:WORD_0 src1_sel:DWORD
	s_nop 1
	v_cndmask_b32_e32 v7, v10, v9, vcc
; %bb.52:
	s_or_b64 exec, exec, s[0:1]
	v_and_b32_e32 v8, 0xffff0000, v8
	s_and_b32 s7, s7, 0xffff0000
	v_mul_f32_e32 v9, s7, v8
	s_mov_b32 s0, 0x7f800000
	v_and_b32_e32 v8, 0x7f800000, v9
	v_cmp_ne_u32_e32 vcc, s0, v8
                                        ; implicit-def: $vgpr8
	s_and_saveexec_b64 s[0:1], vcc
	s_xor_b64 s[0:1], exec, s[0:1]
; %bb.53:
	v_bfe_u32 v8, v9, 16, 1
	s_movk_i32 s8, 0x7fff
	v_add3_u32 v8, v9, v8, s8
                                        ; implicit-def: $vgpr9
; %bb.54:
	s_andn2_saveexec_b64 s[0:1], s[0:1]
; %bb.55:
	v_mov_b32_e32 v8, 0
	v_or_b32_e32 v10, 0x10000, v9
	v_cmp_eq_u32_sdwa vcc, v9, v8 src0_sel:WORD_0 src1_sel:DWORD
	s_nop 1
	v_cndmask_b32_e32 v8, v10, v9, vcc
; %bb.56:
	s_or_b64 exec, exec, s[0:1]
	v_and_b32_e32 v5, 0xffff0000, v5
	v_mul_f32_e32 v5, s2, v5
	s_mov_b32 s0, 0x7f800000
	v_and_b32_e32 v9, 0x7f800000, v5
	v_cmp_ne_u32_e32 vcc, s0, v9
                                        ; implicit-def: $vgpr9
	s_and_saveexec_b64 s[0:1], vcc
	s_xor_b64 s[0:1], exec, s[0:1]
; %bb.57:
	v_bfe_u32 v9, v5, 16, 1
	s_movk_i32 s2, 0x7fff
	v_add3_u32 v9, v5, v9, s2
                                        ; implicit-def: $vgpr5
; %bb.58:
	s_andn2_saveexec_b64 s[0:1], s[0:1]
; %bb.59:
	v_mov_b32_e32 v9, 0
	v_or_b32_e32 v10, 0x10000, v5
	v_cmp_eq_u32_sdwa vcc, v5, v9 src0_sel:WORD_0 src1_sel:DWORD
	s_nop 1
	v_cndmask_b32_e32 v9, v10, v5, vcc
; %bb.60:
	s_or_b64 exec, exec, s[0:1]
	v_and_b32_e32 v5, 0xffff0000, v6
	v_mul_f32_e32 v6, s3, v5
	s_mov_b32 s0, 0x7f800000
	v_and_b32_e32 v5, 0x7f800000, v6
	v_cmp_ne_u32_e32 vcc, s0, v5
                                        ; implicit-def: $vgpr5
	s_and_saveexec_b64 s[0:1], vcc
	s_xor_b64 s[0:1], exec, s[0:1]
; %bb.61:
	v_bfe_u32 v5, v6, 16, 1
	s_movk_i32 s2, 0x7fff
	v_add3_u32 v5, v6, v5, s2
                                        ; implicit-def: $vgpr6
; %bb.62:
	s_andn2_saveexec_b64 s[0:1], s[0:1]
; %bb.63:
	v_mov_b32_e32 v5, 0
	v_or_b32_e32 v10, 0x10000, v6
	v_cmp_eq_u32_sdwa vcc, v6, v5 src0_sel:WORD_0 src1_sel:DWORD
	s_nop 1
	v_cndmask_b32_e32 v5, v10, v6, vcc
; %bb.64:
	s_or_b64 exec, exec, s[0:1]
	global_load_dword v3, v[2:3], off offset:4
	v_and_b32_e32 v2, 0xffff0000, v9
	s_mov_b32 s0, 0x7f800000
	s_waitcnt vmcnt(0)
	v_lshlrev_b32_e32 v6, 16, v3
	v_add_f32_e32 v6, v2, v6
	v_and_b32_e32 v2, 0x7f800000, v6
	v_cmp_ne_u32_e32 vcc, s0, v2
                                        ; implicit-def: $vgpr2
	s_and_saveexec_b64 s[0:1], vcc
	s_xor_b64 s[0:1], exec, s[0:1]
; %bb.65:
	v_bfe_u32 v2, v6, 16, 1
	s_movk_i32 s2, 0x7fff
	v_add3_u32 v2, v6, v2, s2
                                        ; implicit-def: $vgpr6
; %bb.66:
	s_andn2_saveexec_b64 s[0:1], s[0:1]
; %bb.67:
	v_mov_b32_e32 v2, 0
	v_or_b32_e32 v9, 0x10000, v6
	v_cmp_eq_u32_sdwa vcc, v6, v2 src0_sel:WORD_0 src1_sel:DWORD
	s_nop 1
	v_cndmask_b32_e32 v2, v9, v6, vcc
; %bb.68:
	s_or_b64 exec, exec, s[0:1]
	v_and_b32_e32 v5, 0xffff0000, v5
	v_and_b32_e32 v3, 0xffff0000, v3
	v_add_f32_e32 v5, v5, v3
	s_mov_b32 s0, 0x7f800000
	v_and_b32_e32 v3, 0x7f800000, v5
	v_cmp_ne_u32_e32 vcc, s0, v3
                                        ; implicit-def: $vgpr3
	s_and_saveexec_b64 s[0:1], vcc
	s_xor_b64 s[0:1], exec, s[0:1]
; %bb.69:
	v_bfe_u32 v3, v5, 16, 1
	s_movk_i32 s2, 0x7fff
	v_add3_u32 v3, v5, v3, s2
                                        ; implicit-def: $vgpr5
; %bb.70:
	s_andn2_saveexec_b64 s[0:1], s[0:1]
; %bb.71:
	v_mov_b32_e32 v3, 0
	v_or_b32_e32 v6, 0x10000, v5
	v_cmp_eq_u32_sdwa vcc, v5, v3 src0_sel:WORD_0 src1_sel:DWORD
	s_nop 1
	v_cndmask_b32_e32 v3, v6, v5, vcc
; %bb.72:
	s_or_b64 exec, exec, s[0:1]
	v_and_b32_e32 v2, 0xffff0000, v2
	v_mul_f32_e32 v5, s6, v2
	s_mov_b32 s0, 0x7f800000
	v_and_b32_e32 v2, 0x7f800000, v5
	v_cmp_ne_u32_e32 vcc, s0, v2
                                        ; implicit-def: $vgpr2
	s_and_saveexec_b64 s[0:1], vcc
	s_xor_b64 s[0:1], exec, s[0:1]
; %bb.73:
	v_bfe_u32 v2, v5, 16, 1
	s_movk_i32 s2, 0x7fff
	v_add3_u32 v2, v5, v2, s2
                                        ; implicit-def: $vgpr5
; %bb.74:
	s_andn2_saveexec_b64 s[0:1], s[0:1]
; %bb.75:
	v_mov_b32_e32 v2, 0
	v_or_b32_e32 v6, 0x10000, v5
	v_cmp_eq_u32_sdwa vcc, v5, v2 src0_sel:WORD_0 src1_sel:DWORD
	s_nop 1
	v_cndmask_b32_e32 v2, v6, v5, vcc
; %bb.76:
	s_or_b64 exec, exec, s[0:1]
	v_and_b32_e32 v3, 0xffff0000, v3
	v_mul_f32_e32 v5, s7, v3
	s_mov_b32 s0, 0x7f800000
	v_and_b32_e32 v3, 0x7f800000, v5
	v_cmp_ne_u32_e32 vcc, s0, v3
                                        ; implicit-def: $vgpr3
	s_and_saveexec_b64 s[0:1], vcc
	s_xor_b64 s[0:1], exec, s[0:1]
; %bb.77:
	v_bfe_u32 v3, v5, 16, 1
	s_movk_i32 s2, 0x7fff
	v_add3_u32 v3, v5, v3, s2
                                        ; implicit-def: $vgpr5
; %bb.78:
	s_andn2_saveexec_b64 s[0:1], s[0:1]
; %bb.79:
	v_mov_b32_e32 v3, 0
	v_or_b32_e32 v6, 0x10000, v5
	v_cmp_eq_u32_sdwa vcc, v5, v3 src0_sel:WORD_0 src1_sel:DWORD
	s_nop 1
	v_cndmask_b32_e32 v3, v6, v5, vcc
; %bb.80:
	s_or_b64 exec, exec, s[0:1]
	v_and_b32_e32 v6, 0xffff0000, v7
	v_and_b32_e32 v2, 0xffff0000, v2
	;; [unrolled: 1-line block ×3, first 2 shown]
	v_mov_b32_e32 v7, 0
	v_and_b32_e32 v5, 0xffff0000, v8
	v_cvt_pk_fp8_f32 v7, v2, v3
	v_mov_b32_e32 v2, 0
	v_cvt_pk_fp8_f32 v2, v6, v5
	v_mad_u32_u24 v1, v4, 3, v1
	s_add_u32 s0, s4, s13
	v_mov_b32_e32 v3, 0
	v_mad_u64_u32 v[0:1], s[2:3], s12, v1, v[0:1]
	s_addc_u32 s1, s5, 0
	v_and_b32_e32 v5, 0xffff, v7
	v_mov_b32_e32 v1, v3
	v_lshl_or_b32 v2, v2, 16, v5
	v_lshl_add_u64 v[0:1], v[0:1], 2, s[0:1]
	global_store_dword v[0:1], v2, off
	s_endpgm
	.section	.rodata,"a",@progbits
	.p2align	6, 0x0
	.amdhsa_kernel _Z22FP8TrtAddQKVBiasKernel21FP8TrtAddQKVBiasParamI19__hip_fp8_e4m3_fnuz14__hip_bfloat16E
		.amdhsa_group_segment_fixed_size 0
		.amdhsa_private_segment_fixed_size 0
		.amdhsa_kernarg_size 56
		.amdhsa_user_sgpr_count 2
		.amdhsa_user_sgpr_dispatch_ptr 0
		.amdhsa_user_sgpr_queue_ptr 0
		.amdhsa_user_sgpr_kernarg_segment_ptr 1
		.amdhsa_user_sgpr_dispatch_id 0
		.amdhsa_user_sgpr_kernarg_preload_length 0
		.amdhsa_user_sgpr_kernarg_preload_offset 0
		.amdhsa_user_sgpr_private_segment_size 0
		.amdhsa_uses_dynamic_stack 0
		.amdhsa_enable_private_segment 0
		.amdhsa_system_sgpr_workgroup_id_x 1
		.amdhsa_system_sgpr_workgroup_id_y 0
		.amdhsa_system_sgpr_workgroup_id_z 0
		.amdhsa_system_sgpr_workgroup_info 0
		.amdhsa_system_vgpr_workitem_id 2
		.amdhsa_next_free_vgpr 12
		.amdhsa_next_free_sgpr 16
		.amdhsa_accum_offset 12
		.amdhsa_reserve_vcc 1
		.amdhsa_float_round_mode_32 0
		.amdhsa_float_round_mode_16_64 0
		.amdhsa_float_denorm_mode_32 3
		.amdhsa_float_denorm_mode_16_64 3
		.amdhsa_dx10_clamp 1
		.amdhsa_ieee_mode 1
		.amdhsa_fp16_overflow 0
		.amdhsa_tg_split 0
		.amdhsa_exception_fp_ieee_invalid_op 0
		.amdhsa_exception_fp_denorm_src 0
		.amdhsa_exception_fp_ieee_div_zero 0
		.amdhsa_exception_fp_ieee_overflow 0
		.amdhsa_exception_fp_ieee_underflow 0
		.amdhsa_exception_fp_ieee_inexact 0
		.amdhsa_exception_int_div_zero 0
	.end_amdhsa_kernel
	.text
.Lfunc_end0:
	.size	_Z22FP8TrtAddQKVBiasKernel21FP8TrtAddQKVBiasParamI19__hip_fp8_e4m3_fnuz14__hip_bfloat16E, .Lfunc_end0-_Z22FP8TrtAddQKVBiasKernel21FP8TrtAddQKVBiasParamI19__hip_fp8_e4m3_fnuz14__hip_bfloat16E
                                        ; -- End function
	.section	.AMDGPU.csdata,"",@progbits
; Kernel info:
; codeLenInByte = 2244
; NumSgprs: 22
; NumVgprs: 12
; NumAgprs: 0
; TotalNumVgprs: 12
; ScratchSize: 0
; MemoryBound: 0
; FloatMode: 240
; IeeeMode: 1
; LDSByteSize: 0 bytes/workgroup (compile time only)
; SGPRBlocks: 2
; VGPRBlocks: 1
; NumSGPRsForWavesPerEU: 22
; NumVGPRsForWavesPerEU: 12
; AccumOffset: 12
; Occupancy: 8
; WaveLimiterHint : 0
; COMPUTE_PGM_RSRC2:SCRATCH_EN: 0
; COMPUTE_PGM_RSRC2:USER_SGPR: 2
; COMPUTE_PGM_RSRC2:TRAP_HANDLER: 0
; COMPUTE_PGM_RSRC2:TGID_X_EN: 1
; COMPUTE_PGM_RSRC2:TGID_Y_EN: 0
; COMPUTE_PGM_RSRC2:TGID_Z_EN: 0
; COMPUTE_PGM_RSRC2:TIDIG_COMP_CNT: 2
; COMPUTE_PGM_RSRC3_GFX90A:ACCUM_OFFSET: 2
; COMPUTE_PGM_RSRC3_GFX90A:TG_SPLIT: 0
	.text
	.p2alignl 6, 3212836864
	.fill 256, 4, 3212836864
	.type	__hip_cuid_4697664cc0de9776,@object ; @__hip_cuid_4697664cc0de9776
	.section	.bss,"aw",@nobits
	.globl	__hip_cuid_4697664cc0de9776
__hip_cuid_4697664cc0de9776:
	.byte	0                               ; 0x0
	.size	__hip_cuid_4697664cc0de9776, 1

	.ident	"AMD clang version 19.0.0git (https://github.com/RadeonOpenCompute/llvm-project roc-6.4.0 25133 c7fe45cf4b819c5991fe208aaa96edf142730f1d)"
	.section	".note.GNU-stack","",@progbits
	.addrsig
	.addrsig_sym __hip_cuid_4697664cc0de9776
	.amdgpu_metadata
---
amdhsa.kernels:
  - .agpr_count:     0
    .args:
      - .offset:         0
        .size:           56
        .value_kind:     by_value
    .group_segment_fixed_size: 0
    .kernarg_segment_align: 8
    .kernarg_segment_size: 56
    .language:       OpenCL C
    .language_version:
      - 2
      - 0
    .max_flat_workgroup_size: 1024
    .name:           _Z22FP8TrtAddQKVBiasKernel21FP8TrtAddQKVBiasParamI19__hip_fp8_e4m3_fnuz14__hip_bfloat16E
    .private_segment_fixed_size: 0
    .sgpr_count:     22
    .sgpr_spill_count: 0
    .symbol:         _Z22FP8TrtAddQKVBiasKernel21FP8TrtAddQKVBiasParamI19__hip_fp8_e4m3_fnuz14__hip_bfloat16E.kd
    .uniform_work_group_size: 1
    .uses_dynamic_stack: false
    .vgpr_count:     12
    .vgpr_spill_count: 0
    .wavefront_size: 64
amdhsa.target:   amdgcn-amd-amdhsa--gfx942
amdhsa.version:
  - 1
  - 2
...

	.end_amdgpu_metadata
